;; amdgpu-corpus repo=ROCm/rocFFT kind=compiled arch=gfx1030 opt=O3
	.text
	.amdgcn_target "amdgcn-amd-amdhsa--gfx1030"
	.amdhsa_code_object_version 6
	.protected	fft_rtc_fwd_len4096_factors_16_16_16_wgs_256_tpt_256_halfLds_dp_ip_CI_unitstride_sbrr_R2C_dirReg ; -- Begin function fft_rtc_fwd_len4096_factors_16_16_16_wgs_256_tpt_256_halfLds_dp_ip_CI_unitstride_sbrr_R2C_dirReg
	.globl	fft_rtc_fwd_len4096_factors_16_16_16_wgs_256_tpt_256_halfLds_dp_ip_CI_unitstride_sbrr_R2C_dirReg
	.p2align	8
	.type	fft_rtc_fwd_len4096_factors_16_16_16_wgs_256_tpt_256_halfLds_dp_ip_CI_unitstride_sbrr_R2C_dirReg,@function
fft_rtc_fwd_len4096_factors_16_16_16_wgs_256_tpt_256_halfLds_dp_ip_CI_unitstride_sbrr_R2C_dirReg: ; @fft_rtc_fwd_len4096_factors_16_16_16_wgs_256_tpt_256_halfLds_dp_ip_CI_unitstride_sbrr_R2C_dirReg
; %bb.0:
	s_clause 0x2
	s_load_dwordx4 s[8:11], s[4:5], 0x0
	s_load_dwordx2 s[2:3], s[4:5], 0x50
	s_load_dwordx2 s[12:13], s[4:5], 0x18
	v_mov_b32_e32 v3, 0
	v_mov_b32_e32 v1, 0
	v_mov_b32_e32 v5, s6
	v_mov_b32_e32 v2, 0
	v_mov_b32_e32 v6, v3
	s_waitcnt lgkmcnt(0)
	v_cmp_lt_u64_e64 s0, s[10:11], 2
	s_and_b32 vcc_lo, exec_lo, s0
	s_cbranch_vccnz .LBB0_8
; %bb.1:
	s_load_dwordx2 s[0:1], s[4:5], 0x10
	v_mov_b32_e32 v1, 0
	s_add_u32 s6, s12, 8
	v_mov_b32_e32 v2, 0
	s_addc_u32 s7, s13, 0
	s_mov_b64 s[16:17], 1
	s_waitcnt lgkmcnt(0)
	s_add_u32 s14, s0, 8
	s_addc_u32 s15, s1, 0
.LBB0_2:                                ; =>This Inner Loop Header: Depth=1
	s_load_dwordx2 s[18:19], s[14:15], 0x0
                                        ; implicit-def: $vgpr7_vgpr8
	s_mov_b32 s0, exec_lo
	s_waitcnt lgkmcnt(0)
	v_or_b32_e32 v4, s19, v6
	v_cmpx_ne_u64_e32 0, v[3:4]
	s_xor_b32 s1, exec_lo, s0
	s_cbranch_execz .LBB0_4
; %bb.3:                                ;   in Loop: Header=BB0_2 Depth=1
	v_cvt_f32_u32_e32 v4, s18
	v_cvt_f32_u32_e32 v7, s19
	s_sub_u32 s0, 0, s18
	s_subb_u32 s20, 0, s19
	v_fmac_f32_e32 v4, 0x4f800000, v7
	v_rcp_f32_e32 v4, v4
	v_mul_f32_e32 v4, 0x5f7ffffc, v4
	v_mul_f32_e32 v7, 0x2f800000, v4
	v_trunc_f32_e32 v7, v7
	v_fmac_f32_e32 v4, 0xcf800000, v7
	v_cvt_u32_f32_e32 v7, v7
	v_cvt_u32_f32_e32 v4, v4
	v_mul_lo_u32 v8, s0, v7
	v_mul_hi_u32 v9, s0, v4
	v_mul_lo_u32 v10, s20, v4
	v_add_nc_u32_e32 v8, v9, v8
	v_mul_lo_u32 v9, s0, v4
	v_add_nc_u32_e32 v8, v8, v10
	v_mul_hi_u32 v10, v4, v9
	v_mul_lo_u32 v11, v4, v8
	v_mul_hi_u32 v12, v4, v8
	v_mul_hi_u32 v13, v7, v9
	v_mul_lo_u32 v9, v7, v9
	v_mul_hi_u32 v14, v7, v8
	v_mul_lo_u32 v8, v7, v8
	v_add_co_u32 v10, vcc_lo, v10, v11
	v_add_co_ci_u32_e32 v11, vcc_lo, 0, v12, vcc_lo
	v_add_co_u32 v9, vcc_lo, v10, v9
	v_add_co_ci_u32_e32 v9, vcc_lo, v11, v13, vcc_lo
	v_add_co_ci_u32_e32 v10, vcc_lo, 0, v14, vcc_lo
	v_add_co_u32 v8, vcc_lo, v9, v8
	v_add_co_ci_u32_e32 v9, vcc_lo, 0, v10, vcc_lo
	v_add_co_u32 v4, vcc_lo, v4, v8
	v_add_co_ci_u32_e32 v7, vcc_lo, v7, v9, vcc_lo
	v_mul_hi_u32 v8, s0, v4
	v_mul_lo_u32 v10, s20, v4
	v_mul_lo_u32 v9, s0, v7
	v_add_nc_u32_e32 v8, v8, v9
	v_mul_lo_u32 v9, s0, v4
	v_add_nc_u32_e32 v8, v8, v10
	v_mul_hi_u32 v10, v4, v9
	v_mul_lo_u32 v11, v4, v8
	v_mul_hi_u32 v12, v4, v8
	v_mul_hi_u32 v13, v7, v9
	v_mul_lo_u32 v9, v7, v9
	v_mul_hi_u32 v14, v7, v8
	v_mul_lo_u32 v8, v7, v8
	v_add_co_u32 v10, vcc_lo, v10, v11
	v_add_co_ci_u32_e32 v11, vcc_lo, 0, v12, vcc_lo
	v_add_co_u32 v9, vcc_lo, v10, v9
	v_add_co_ci_u32_e32 v9, vcc_lo, v11, v13, vcc_lo
	v_add_co_ci_u32_e32 v10, vcc_lo, 0, v14, vcc_lo
	v_add_co_u32 v8, vcc_lo, v9, v8
	v_add_co_ci_u32_e32 v9, vcc_lo, 0, v10, vcc_lo
	v_add_co_u32 v4, vcc_lo, v4, v8
	v_add_co_ci_u32_e32 v11, vcc_lo, v7, v9, vcc_lo
	v_mul_hi_u32 v13, v5, v4
	v_mad_u64_u32 v[9:10], null, v6, v4, 0
	v_mad_u64_u32 v[7:8], null, v5, v11, 0
	;; [unrolled: 1-line block ×3, first 2 shown]
	v_add_co_u32 v4, vcc_lo, v13, v7
	v_add_co_ci_u32_e32 v7, vcc_lo, 0, v8, vcc_lo
	v_add_co_u32 v4, vcc_lo, v4, v9
	v_add_co_ci_u32_e32 v4, vcc_lo, v7, v10, vcc_lo
	v_add_co_ci_u32_e32 v7, vcc_lo, 0, v12, vcc_lo
	v_add_co_u32 v4, vcc_lo, v4, v11
	v_add_co_ci_u32_e32 v9, vcc_lo, 0, v7, vcc_lo
	v_mul_lo_u32 v10, s19, v4
	v_mad_u64_u32 v[7:8], null, s18, v4, 0
	v_mul_lo_u32 v11, s18, v9
	v_sub_co_u32 v7, vcc_lo, v5, v7
	v_add3_u32 v8, v8, v11, v10
	v_sub_nc_u32_e32 v10, v6, v8
	v_subrev_co_ci_u32_e64 v10, s0, s19, v10, vcc_lo
	v_add_co_u32 v11, s0, v4, 2
	v_add_co_ci_u32_e64 v12, s0, 0, v9, s0
	v_sub_co_u32 v13, s0, v7, s18
	v_sub_co_ci_u32_e32 v8, vcc_lo, v6, v8, vcc_lo
	v_subrev_co_ci_u32_e64 v10, s0, 0, v10, s0
	v_cmp_le_u32_e32 vcc_lo, s18, v13
	v_cmp_eq_u32_e64 s0, s19, v8
	v_cndmask_b32_e64 v13, 0, -1, vcc_lo
	v_cmp_le_u32_e32 vcc_lo, s19, v10
	v_cndmask_b32_e64 v14, 0, -1, vcc_lo
	v_cmp_le_u32_e32 vcc_lo, s18, v7
	;; [unrolled: 2-line block ×3, first 2 shown]
	v_cndmask_b32_e64 v15, 0, -1, vcc_lo
	v_cmp_eq_u32_e32 vcc_lo, s19, v10
	v_cndmask_b32_e64 v7, v15, v7, s0
	v_cndmask_b32_e32 v10, v14, v13, vcc_lo
	v_add_co_u32 v13, vcc_lo, v4, 1
	v_add_co_ci_u32_e32 v14, vcc_lo, 0, v9, vcc_lo
	v_cmp_ne_u32_e32 vcc_lo, 0, v10
	v_cndmask_b32_e32 v8, v14, v12, vcc_lo
	v_cndmask_b32_e32 v10, v13, v11, vcc_lo
	v_cmp_ne_u32_e32 vcc_lo, 0, v7
	v_cndmask_b32_e32 v8, v9, v8, vcc_lo
	v_cndmask_b32_e32 v7, v4, v10, vcc_lo
.LBB0_4:                                ;   in Loop: Header=BB0_2 Depth=1
	s_andn2_saveexec_b32 s0, s1
	s_cbranch_execz .LBB0_6
; %bb.5:                                ;   in Loop: Header=BB0_2 Depth=1
	v_cvt_f32_u32_e32 v4, s18
	s_sub_i32 s1, 0, s18
	v_rcp_iflag_f32_e32 v4, v4
	v_mul_f32_e32 v4, 0x4f7ffffe, v4
	v_cvt_u32_f32_e32 v4, v4
	v_mul_lo_u32 v7, s1, v4
	v_mul_hi_u32 v7, v4, v7
	v_add_nc_u32_e32 v4, v4, v7
	v_mul_hi_u32 v4, v5, v4
	v_mul_lo_u32 v7, v4, s18
	v_add_nc_u32_e32 v8, 1, v4
	v_sub_nc_u32_e32 v7, v5, v7
	v_subrev_nc_u32_e32 v9, s18, v7
	v_cmp_le_u32_e32 vcc_lo, s18, v7
	v_cndmask_b32_e32 v7, v7, v9, vcc_lo
	v_cndmask_b32_e32 v4, v4, v8, vcc_lo
	v_cmp_le_u32_e32 vcc_lo, s18, v7
	v_add_nc_u32_e32 v8, 1, v4
	v_cndmask_b32_e32 v7, v4, v8, vcc_lo
	v_mov_b32_e32 v8, v3
.LBB0_6:                                ;   in Loop: Header=BB0_2 Depth=1
	s_or_b32 exec_lo, exec_lo, s0
	s_load_dwordx2 s[0:1], s[6:7], 0x0
	v_mul_lo_u32 v4, v8, s18
	v_mul_lo_u32 v11, v7, s19
	v_mad_u64_u32 v[9:10], null, v7, s18, 0
	s_add_u32 s16, s16, 1
	s_addc_u32 s17, s17, 0
	s_add_u32 s6, s6, 8
	s_addc_u32 s7, s7, 0
	;; [unrolled: 2-line block ×3, first 2 shown]
	v_add3_u32 v4, v10, v11, v4
	v_sub_co_u32 v5, vcc_lo, v5, v9
	v_sub_co_ci_u32_e32 v4, vcc_lo, v6, v4, vcc_lo
	s_waitcnt lgkmcnt(0)
	v_mul_lo_u32 v6, s1, v5
	v_mul_lo_u32 v4, s0, v4
	v_mad_u64_u32 v[1:2], null, s0, v5, v[1:2]
	v_cmp_ge_u64_e64 s0, s[16:17], s[10:11]
	s_and_b32 vcc_lo, exec_lo, s0
	v_add3_u32 v2, v6, v2, v4
	s_cbranch_vccnz .LBB0_9
; %bb.7:                                ;   in Loop: Header=BB0_2 Depth=1
	v_mov_b32_e32 v5, v7
	v_mov_b32_e32 v6, v8
	s_branch .LBB0_2
.LBB0_8:
	v_mov_b32_e32 v8, v6
	v_mov_b32_e32 v7, v5
.LBB0_9:
	s_lshl_b64 s[0:1], s[10:11], 3
	v_or_b32_e32 v6, 0x100, v0
	s_add_u32 s0, s12, s0
	s_addc_u32 s1, s13, s1
	v_or_b32_e32 v14, 0x200, v0
	s_load_dwordx2 s[0:1], s[0:1], 0x0
	s_load_dwordx2 s[4:5], s[4:5], 0x20
	v_or_b32_e32 v13, 0x300, v0
	v_or_b32_e32 v12, 0x400, v0
	;; [unrolled: 1-line block ×12, first 2 shown]
	s_waitcnt lgkmcnt(0)
	v_mul_lo_u32 v3, s0, v8
	v_mul_lo_u32 v9, s1, v7
	v_mad_u64_u32 v[1:2], null, s0, v7, v[1:2]
	v_cmp_gt_u64_e32 vcc_lo, s[4:5], v[7:8]
	v_cmp_le_u64_e64 s0, s[4:5], v[7:8]
	v_add3_u32 v2, v9, v2, v3
	v_or_b32_e32 v3, 0xf00, v0
	s_and_saveexec_b32 s1, s0
	s_xor_b32 s0, exec_lo, s1
	s_cbranch_execz .LBB0_11
; %bb.10:
	v_or_b32_e32 v6, 0x100, v0
	v_or_b32_e32 v14, 0x200, v0
	;; [unrolled: 1-line block ×15, first 2 shown]
.LBB0_11:
	s_or_saveexec_b32 s1, s0
	v_lshlrev_b64 v[8:9], 4, v[1:2]
	v_lshlrev_b32_e32 v20, 4, v0
	s_xor_b32 exec_lo, exec_lo, s1
	s_cbranch_execz .LBB0_13
; %bb.12:
	v_lshlrev_b32_e32 v7, 4, v13
	v_add_co_u32 v21, s0, s2, v8
	v_add_co_ci_u32_e64 v53, s0, s3, v9, s0
	v_lshlrev_b32_e32 v25, 4, v6
	v_add_co_u32 v1, s0, v21, v7
	v_add_co_ci_u32_e64 v2, s0, 0, v53, s0
	v_add_co_u32 v23, s0, v21, v20
	v_lshlrev_b32_e32 v87, 4, v5
	v_add_co_ci_u32_e64 v24, s0, 0, v53, s0
	v_add_co_u32 v27, s0, v21, v25
	v_lshlrev_b32_e32 v25, 4, v14
	v_add_co_ci_u32_e64 v28, s0, 0, v53, s0
	v_add_co_u32 v31, s0, v21, v87
	v_add_co_ci_u32_e64 v32, s0, 0, v53, s0
	v_add_co_u32 v39, s0, v21, v25
	v_add_co_ci_u32_e64 v40, s0, 0, v53, s0
	s_clause 0x4
	global_load_dwordx4 v[23:26], v[23:24], off
	global_load_dwordx4 v[27:30], v[27:28], off
	;; [unrolled: 1-line block ×5, first 2 shown]
	v_lshlrev_b32_e32 v1, 4, v12
	v_lshlrev_b32_e32 v43, 4, v11
	v_lshlrev_b32_e32 v44, 4, v10
	v_lshlrev_b32_e32 v45, 4, v22
	v_lshlrev_b32_e32 v46, 4, v19
	v_add_co_u32 v1, s0, v21, v1
	v_add_co_ci_u32_e64 v2, s0, 0, v53, s0
	v_add_co_u32 v47, s0, v21, v43
	v_add_co_ci_u32_e64 v48, s0, 0, v53, s0
	;; [unrolled: 2-line block ×3, first 2 shown]
	v_add_co_u32 v55, s0, v21, v45
	v_lshlrev_b32_e32 v49, 4, v18
	v_add_co_ci_u32_e64 v56, s0, 0, v53, s0
	v_add_co_u32 v59, s0, v21, v46
	v_lshlrev_b32_e32 v88, 4, v17
	v_add_co_ci_u32_e64 v60, s0, 0, v53, s0
	;; [unrolled: 3-line block ×6, first 2 shown]
	v_add_co_u32 v79, s0, v21, v57
	v_add_co_ci_u32_e64 v80, s0, 0, v53, s0
	s_clause 0x1
	global_load_dwordx4 v[43:46], v[1:2], off
	global_load_dwordx4 v[47:50], v[47:48], off
	v_add_co_u32 v1, s0, v21, v89
	v_add_co_ci_u32_e64 v2, s0, 0, v53, s0
	s_clause 0x8
	global_load_dwordx4 v[51:54], v[51:52], off
	global_load_dwordx4 v[55:58], v[55:56], off
	;; [unrolled: 1-line block ×9, first 2 shown]
	v_add_nc_u32_e32 v1, 0, v7
	v_add_nc_u32_e32 v2, 0, v20
	;; [unrolled: 1-line block ×5, first 2 shown]
	s_waitcnt vmcnt(12)
	ds_write_b128 v1, v[35:38]
	ds_write_b128 v2, v[23:26]
	ds_write_b128 v2, v[27:30] offset:4096
	ds_write_b128 v7, v[31:34]
	s_waitcnt vmcnt(11)
	ds_write_b128 v2, v[39:42] offset:8192
	s_waitcnt vmcnt(10)
	ds_write_b128 v2, v[43:46] offset:16384
	;; [unrolled: 2-line block ×7, first 2 shown]
	s_waitcnt vmcnt(4)
	ds_write_b128 v21, v[67:70]
	s_waitcnt vmcnt(3)
	ds_write_b128 v2, v[71:74] offset:49152
	s_waitcnt vmcnt(2)
	ds_write_b128 v2, v[75:78] offset:53248
	;; [unrolled: 2-line block ×3, first 2 shown]
	s_waitcnt vmcnt(0)
	ds_write_b128 v87, v[83:86]
.LBB0_13:
	s_or_b32 exec_lo, exec_lo, s1
	v_add_nc_u32_e32 v21, 0, v20
	s_waitcnt lgkmcnt(0)
	s_barrier
	buffer_gl0_inv
	s_mov_b32 s6, 0x667f3bcd
	ds_read_b128 v[23:26], v21 offset:32768
	ds_read_b128 v[27:30], v21 offset:16384
	;; [unrolled: 1-line block ×4, first 2 shown]
	ds_read_b128 v[39:42], v21
	ds_read_b128 v[43:46], v21 offset:8192
	ds_read_b128 v[47:50], v21 offset:57344
	;; [unrolled: 1-line block ×11, first 2 shown]
	s_mov_b32 s7, 0xbfe6a09e
	s_mov_b32 s11, 0x3fe6a09e
	s_mov_b32 s10, s6
	s_mov_b32 s4, 0xcf328d46
	s_mov_b32 s5, 0xbfed906b
	s_mov_b32 s13, 0x3fed906b
	s_waitcnt lgkmcnt(13)
	v_add_f64 v[33:34], v[29:30], -v[33:34]
	s_mov_b32 s12, s4
	s_waitcnt lgkmcnt(11)
	v_add_f64 v[1:2], v[39:40], -v[23:24]
	v_add_f64 v[23:24], v[41:42], -v[25:26]
	;; [unrolled: 1-line block ×3, first 2 shown]
	s_waitcnt lgkmcnt(10)
	v_add_f64 v[31:32], v[43:44], -v[35:36]
	v_add_f64 v[35:36], v[45:46], -v[37:38]
	s_waitcnt lgkmcnt(8)
	v_add_f64 v[37:38], v[53:54], -v[49:50]
	s_waitcnt lgkmcnt(6)
	v_add_f64 v[49:50], v[55:56], -v[59:60]
	v_add_f64 v[59:60], v[57:58], -v[61:62]
	s_waitcnt lgkmcnt(4)
	v_add_f64 v[61:62], v[63:64], -v[67:68]
	s_waitcnt lgkmcnt(2)
	v_add_f64 v[67:68], v[71:72], -v[75:76]
	v_add_f64 v[75:76], v[73:74], -v[77:78]
	;; [unrolled: 1-line block ×3, first 2 shown]
	s_waitcnt lgkmcnt(0)
	v_add_f64 v[77:78], v[81:82], -v[85:86]
	v_add_f64 v[83:84], v[79:80], -v[83:84]
	v_add_f64 v[47:48], v[51:52], -v[47:48]
	s_mov_b32 s14, 0xa6aea964
	s_mov_b32 s15, 0xbfd87de2
	;; [unrolled: 1-line block ×4, first 2 shown]
	v_and_b32_e32 v7, 15, v0
	v_fma_f64 v[29:30], v[29:30], 2.0, -v[33:34]
	v_fma_f64 v[39:40], v[39:40], 2.0, -v[1:2]
	v_add_f64 v[89:90], v[1:2], -v[33:34]
	v_fma_f64 v[27:28], v[27:28], 2.0, -v[25:26]
	v_add_f64 v[25:26], v[23:24], v[25:26]
	v_fma_f64 v[45:46], v[45:46], 2.0, -v[35:36]
	v_fma_f64 v[53:54], v[53:54], 2.0, -v[37:38]
	v_add_f64 v[37:38], v[31:32], -v[37:38]
	v_fma_f64 v[55:56], v[55:56], 2.0, -v[49:50]
	v_fma_f64 v[63:64], v[63:64], 2.0, -v[61:62]
	v_add_f64 v[61:62], v[59:60], v[61:62]
	v_fma_f64 v[41:42], v[41:42], 2.0, -v[23:24]
	v_add_f64 v[85:86], v[49:50], -v[69:70]
	v_add_f64 v[87:88], v[67:68], -v[77:78]
	v_add_f64 v[91:92], v[75:76], v[83:84]
	v_add_f64 v[93:94], v[35:36], v[47:48]
	v_fma_f64 v[43:44], v[43:44], 2.0, -v[31:32]
	v_fma_f64 v[57:58], v[57:58], 2.0, -v[59:60]
	;; [unrolled: 1-line block ×9, first 2 shown]
	v_add_f64 v[27:28], v[39:40], -v[27:28]
	v_fma_f64 v[23:24], v[23:24], 2.0, -v[25:26]
	s_barrier
	v_add_f64 v[33:34], v[45:46], -v[53:54]
	v_fma_f64 v[31:32], v[31:32], 2.0, -v[37:38]
	buffer_gl0_inv
	v_add_f64 v[51:52], v[55:56], -v[63:64]
	v_fma_f64 v[59:60], v[59:60], 2.0, -v[61:62]
	v_add_f64 v[29:30], v[41:42], -v[29:30]
	v_fma_f64 v[49:50], v[49:50], 2.0, -v[85:86]
	v_fma_f64 v[53:54], v[67:68], 2.0, -v[87:88]
	;; [unrolled: 1-line block ×4, first 2 shown]
	v_fma_f64 v[75:76], v[37:38], s[10:11], v[89:90]
	v_fma_f64 v[81:82], v[91:92], s[10:11], v[61:62]
	v_lshl_add_u32 v4, v4, 4, 0
	v_lshl_add_u32 v3, v3, 4, 0
	v_add_f64 v[67:68], v[73:74], -v[77:78]
	v_add_f64 v[69:70], v[71:72], -v[79:80]
	;; [unrolled: 1-line block ×4, first 2 shown]
	v_fma_f64 v[77:78], v[93:94], s[10:11], v[25:26]
	v_fma_f64 v[79:80], v[87:88], s[10:11], v[85:86]
	v_fma_f64 v[39:40], v[39:40], 2.0, -v[27:28]
	v_lshl_add_u32 v17, v17, 4, 0
	v_add_f64 v[83:84], v[27:28], -v[33:34]
	v_fma_f64 v[33:34], v[45:46], 2.0, -v[33:34]
	v_fma_f64 v[97:98], v[31:32], s[6:7], v[1:2]
	v_lshl_add_u32 v16, v16, 4, 0
	v_lshl_add_u32 v15, v15, 4, 0
	v_fma_f64 v[41:42], v[41:42], 2.0, -v[29:30]
	v_fma_f64 v[45:46], v[53:54], s[6:7], v[49:50]
	v_fma_f64 v[95:96], v[63:64], s[6:7], v[59:60]
	;; [unrolled: 1-line block ×3, first 2 shown]
	v_add_f64 v[101:102], v[51:52], -v[67:68]
	v_fma_f64 v[71:72], v[71:72], 2.0, -v[69:70]
	v_add_f64 v[69:70], v[65:66], v[69:70]
	v_fma_f64 v[43:44], v[43:44], 2.0, -v[47:48]
	v_add_f64 v[103:104], v[29:30], v[47:48]
	v_fma_f64 v[47:48], v[55:56], 2.0, -v[51:52]
	v_fma_f64 v[55:56], v[57:58], 2.0, -v[65:66]
	;; [unrolled: 1-line block ×3, first 2 shown]
	v_fma_f64 v[67:68], v[93:94], s[6:7], v[75:76]
	v_fma_f64 v[73:74], v[37:38], s[10:11], v[77:78]
	;; [unrolled: 1-line block ×5, first 2 shown]
	v_add_f64 v[91:92], v[41:42], -v[33:34]
	v_fma_f64 v[77:78], v[27:28], 2.0, -v[83:84]
	v_fma_f64 v[63:64], v[63:64], s[6:7], v[45:46]
	v_fma_f64 v[53:54], v[53:54], s[10:11], v[95:96]
	;; [unrolled: 1-line block ×3, first 2 shown]
	v_fma_f64 v[45:46], v[51:52], 2.0, -v[101:102]
	v_fma_f64 v[27:28], v[101:102], s[10:11], v[83:84]
	v_fma_f64 v[51:52], v[65:66], 2.0, -v[69:70]
	v_add_f64 v[65:66], v[39:40], -v[43:44]
	v_fma_f64 v[87:88], v[29:30], 2.0, -v[103:104]
	v_add_f64 v[33:34], v[47:48], -v[71:72]
	v_fma_f64 v[29:30], v[69:70], s[10:11], v[103:104]
	v_add_f64 v[31:32], v[55:56], -v[57:58]
	v_fma_f64 v[35:36], v[37:38], s[12:13], v[67:68]
	v_fma_f64 v[43:44], v[75:76], s[12:13], v[73:74]
	v_fma_f64 v[57:58], v[85:86], 2.0, -v[37:38]
	v_fma_f64 v[61:62], v[61:62], 2.0, -v[75:76]
	;; [unrolled: 1-line block ×9, first 2 shown]
	v_fma_f64 v[49:50], v[45:46], s[6:7], v[77:78]
	v_fma_f64 v[23:24], v[69:70], s[6:7], v[27:28]
	;; [unrolled: 1-line block ×3, first 2 shown]
	v_fma_f64 v[97:98], v[39:40], 2.0, -v[65:66]
	v_fma_f64 v[95:96], v[51:52], s[6:7], v[87:88]
	v_fma_f64 v[39:40], v[47:48], 2.0, -v[33:34]
	v_fma_f64 v[25:26], v[101:102], s[10:11], v[29:30]
	;; [unrolled: 2-line block ×3, first 2 shown]
	v_add_f64 v[31:32], v[65:66], -v[31:32]
	v_fma_f64 v[27:28], v[75:76], s[14:15], v[35:36]
	v_fma_f64 v[29:30], v[37:38], s[16:17], v[43:44]
	v_add_f64 v[33:34], v[91:92], v[33:34]
	v_fma_f64 v[43:44], v[57:58], s[14:15], v[85:86]
	v_fma_f64 v[47:48], v[61:62], s[14:15], v[89:90]
	;; [unrolled: 1-line block ×4, first 2 shown]
	v_add_f64 v[35:36], v[97:98], -v[39:40]
	v_fma_f64 v[39:40], v[51:52], s[6:7], v[49:50]
	v_add_f64 v[37:38], v[99:100], -v[41:42]
	v_fma_f64 v[41:42], v[45:46], s[10:11], v[95:96]
	v_fma_f64 v[49:50], v[63:64], s[12:13], v[69:70]
	v_fma_f64 v[63:64], v[67:68], 2.0, -v[27:28]
	v_fma_f64 v[43:44], v[61:62], s[4:5], v[43:44]
	v_fma_f64 v[45:46], v[57:58], s[12:13], v[47:48]
	;; [unrolled: 1-line block ×4, first 2 shown]
	v_fma_f64 v[55:56], v[65:66], 2.0, -v[31:32]
	v_fma_f64 v[53:54], v[71:72], s[16:17], v[101:102]
	v_fma_f64 v[57:58], v[91:92], 2.0, -v[33:34]
	v_fma_f64 v[59:60], v[83:84], 2.0, -v[23:24]
	;; [unrolled: 1-line block ×13, first 2 shown]
	v_mul_u32_u24_e32 v1, 15, v7
	v_fma_f64 v[85:86], v[93:94], 2.0, -v[53:54]
	v_mad_u32_u24 v2, 0xf0, v0, v21
	ds_write_b128 v2, v[31:34] offset:192
	ds_write_b128 v2, v[23:26] offset:224
	;; [unrolled: 1-line block ×10, first 2 shown]
	ds_write_b128 v2, v[67:70]
	ds_write_b128 v2, v[71:74] offset:32
	ds_write_b128 v2, v[75:78] offset:48
	;; [unrolled: 1-line block ×5, first 2 shown]
	v_lshlrev_b32_e32 v1, 4, v1
	s_waitcnt lgkmcnt(0)
	s_barrier
	buffer_gl0_inv
	s_clause 0xe
	global_load_dwordx4 v[23:26], v1, s[8:9]
	global_load_dwordx4 v[27:30], v1, s[8:9] offset:16
	global_load_dwordx4 v[31:34], v1, s[8:9] offset:32
	;; [unrolled: 1-line block ×14, first 2 shown]
	ds_read_b128 v[79:82], v21 offset:4096
	ds_read_b128 v[87:90], v21
	ds_read_b128 v[91:94], v21 offset:8192
	ds_read_b128 v[95:98], v21 offset:12288
	v_or_b32_e32 v7, v20, v0
	s_waitcnt vmcnt(14) lgkmcnt(3)
	v_mul_f64 v[1:2], v[81:82], v[25:26]
	v_mul_f64 v[25:26], v[79:80], v[25:26]
	s_waitcnt vmcnt(13) lgkmcnt(1)
	v_mul_f64 v[99:100], v[93:94], v[29:30]
	v_fma_f64 v[1:2], v[79:80], v[23:24], -v[1:2]
	v_fma_f64 v[79:80], v[81:82], v[23:24], v[25:26]
	v_mul_f64 v[23:24], v[91:92], v[29:30]
	s_waitcnt vmcnt(12) lgkmcnt(0)
	v_mul_f64 v[81:82], v[97:98], v[33:34]
	v_mul_f64 v[33:34], v[95:96], v[33:34]
	v_fma_f64 v[91:92], v[91:92], v[27:28], -v[99:100]
	v_fma_f64 v[93:94], v[93:94], v[27:28], v[23:24]
	ds_read_b128 v[23:26], v21 offset:16384
	ds_read_b128 v[27:30], v21 offset:20480
	v_fma_f64 v[81:82], v[95:96], v[31:32], -v[81:82]
	v_fma_f64 v[95:96], v[97:98], v[31:32], v[33:34]
	s_waitcnt vmcnt(11) lgkmcnt(1)
	v_mul_f64 v[99:100], v[25:26], v[37:38]
	v_mul_f64 v[31:32], v[23:24], v[37:38]
	s_waitcnt vmcnt(10) lgkmcnt(0)
	v_mul_f64 v[37:38], v[29:30], v[41:42]
	v_mul_f64 v[41:42], v[27:28], v[41:42]
	v_fma_f64 v[97:98], v[23:24], v[35:36], -v[99:100]
	v_fma_f64 v[35:36], v[25:26], v[35:36], v[31:32]
	ds_read_b128 v[23:26], v21 offset:24576
	ds_read_b128 v[31:34], v21 offset:28672
	v_fma_f64 v[37:38], v[27:28], v[39:40], -v[37:38]
	v_fma_f64 v[39:40], v[29:30], v[39:40], v[41:42]
	s_waitcnt vmcnt(9) lgkmcnt(1)
	v_mul_f64 v[99:100], v[25:26], v[45:46]
	;; [unrolled: 12-line block ×4, first 2 shown]
	v_mul_f64 v[27:28], v[23:24], v[61:62]
	s_waitcnt vmcnt(4) lgkmcnt(0)
	v_mul_f64 v[55:56], v[33:34], v[65:66]
	v_mul_f64 v[61:62], v[31:32], v[65:66]
	v_add_f64 v[57:58], v[87:88], -v[57:58]
	v_add_f64 v[51:52], v[89:90], -v[51:52]
	;; [unrolled: 1-line block ×4, first 2 shown]
	v_fma_f64 v[65:66], v[23:24], v[59:60], -v[99:100]
	v_fma_f64 v[59:60], v[25:26], v[59:60], v[27:28]
	ds_read_b128 v[23:26], v21 offset:49152
	ds_read_b128 v[27:30], v21 offset:53248
	v_fma_f64 v[55:56], v[31:32], v[63:64], -v[55:56]
	v_fma_f64 v[61:62], v[33:34], v[63:64], v[61:62]
	ds_read_b128 v[31:34], v21 offset:61440
	v_fma_f64 v[1:2], v[1:2], 2.0, -v[47:48]
	s_waitcnt vmcnt(3) lgkmcnt(2)
	v_mul_f64 v[99:100], v[25:26], v[69:70]
	v_mul_f64 v[63:64], v[23:24], v[69:70]
	s_waitcnt vmcnt(2) lgkmcnt(1)
	v_mul_f64 v[69:70], v[29:30], v[73:74]
	v_add_f64 v[65:66], v[91:92], -v[65:66]
	v_add_f64 v[59:60], v[93:94], -v[59:60]
	;; [unrolled: 1-line block ×4, first 2 shown]
	v_fma_f64 v[99:100], v[23:24], v[67:68], -v[99:100]
	v_fma_f64 v[63:64], v[25:26], v[67:68], v[63:64]
	ds_read_b128 v[23:26], v21 offset:57344
	v_mul_f64 v[67:68], v[27:28], v[73:74]
	s_waitcnt vmcnt(1) lgkmcnt(1)
	v_mul_f64 v[73:74], v[31:32], v[77:78]
	v_fma_f64 v[27:28], v[27:28], v[71:72], -v[69:70]
	s_waitcnt vmcnt(0) lgkmcnt(0)
	s_barrier
	buffer_gl0_inv
	v_mul_f64 v[69:70], v[23:24], v[85:86]
	v_add_f64 v[63:64], v[35:36], -v[63:64]
	v_fma_f64 v[29:30], v[29:30], v[71:72], v[67:68]
	v_mul_f64 v[67:68], v[33:34], v[77:78]
	v_mul_f64 v[71:72], v[25:26], v[85:86]
	v_fma_f64 v[33:34], v[33:34], v[75:76], v[73:74]
	v_add_f64 v[27:28], v[37:38], -v[27:28]
	v_fma_f64 v[73:74], v[91:92], 2.0, -v[65:66]
	v_fma_f64 v[77:78], v[79:80], 2.0, -v[53:54]
	;; [unrolled: 1-line block ×4, first 2 shown]
	v_fma_f64 v[25:26], v[25:26], v[83:84], v[69:70]
	v_fma_f64 v[69:70], v[87:88], 2.0, -v[57:58]
	v_add_f64 v[85:86], v[57:58], -v[63:64]
	v_add_f64 v[29:30], v[39:40], -v[29:30]
	v_fma_f64 v[31:32], v[31:32], v[75:76], -v[67:68]
	v_fma_f64 v[23:24], v[23:24], v[83:84], -v[71:72]
	v_add_f64 v[33:34], v[45:46], -v[33:34]
	v_add_f64 v[67:68], v[97:98], -v[99:100]
	v_fma_f64 v[71:72], v[89:90], 2.0, -v[51:52]
	v_fma_f64 v[75:76], v[93:94], 2.0, -v[59:60]
	;; [unrolled: 1-line block ×3, first 2 shown]
	v_add_f64 v[27:28], v[53:54], v[27:28]
	v_fma_f64 v[35:36], v[35:36], 2.0, -v[63:64]
	v_add_f64 v[25:26], v[43:44], -v[25:26]
	v_add_f64 v[83:84], v[47:48], -v[29:30]
	;; [unrolled: 1-line block ×4, first 2 shown]
	v_fma_f64 v[45:46], v[45:46], 2.0, -v[33:34]
	v_add_f64 v[33:34], v[55:56], -v[33:34]
	v_add_f64 v[87:88], v[51:52], v[67:68]
	v_fma_f64 v[29:30], v[39:40], 2.0, -v[29:30]
	v_fma_f64 v[39:40], v[97:98], 2.0, -v[67:68]
	v_add_f64 v[37:38], v[1:2], -v[37:38]
	v_add_f64 v[35:36], v[71:72], -v[35:36]
	;; [unrolled: 1-line block ×3, first 2 shown]
	v_fma_f64 v[25:26], v[43:44], 2.0, -v[25:26]
	v_fma_f64 v[43:44], v[47:48], 2.0, -v[83:84]
	v_add_f64 v[89:90], v[61:62], v[31:32]
	v_add_f64 v[93:94], v[59:60], v[23:24]
	v_fma_f64 v[31:32], v[41:42], 2.0, -v[31:32]
	v_fma_f64 v[23:24], v[49:50], 2.0, -v[23:24]
	v_add_f64 v[41:42], v[81:82], -v[45:46]
	v_fma_f64 v[45:46], v[55:56], 2.0, -v[33:34]
	v_fma_f64 v[47:48], v[57:58], 2.0, -v[85:86]
	;; [unrolled: 1-line block ×4, first 2 shown]
	v_add_f64 v[29:30], v[77:78], -v[29:30]
	v_add_f64 v[39:40], v[69:70], -v[39:40]
	v_fma_f64 v[63:64], v[33:34], s[10:11], v[83:84]
	v_fma_f64 v[71:72], v[71:72], 2.0, -v[35:36]
	v_fma_f64 v[1:2], v[1:2], 2.0, -v[37:38]
	;; [unrolled: 1-line block ×3, first 2 shown]
	v_add_f64 v[25:26], v[75:76], -v[25:26]
	v_fma_f64 v[53:54], v[61:62], 2.0, -v[89:90]
	v_fma_f64 v[57:58], v[59:60], 2.0, -v[93:94]
	v_add_f64 v[31:32], v[79:80], -v[31:32]
	v_add_f64 v[23:24], v[73:74], -v[23:24]
	v_fma_f64 v[59:60], v[91:92], s[10:11], v[85:86]
	v_fma_f64 v[61:62], v[93:94], s[10:11], v[87:88]
	;; [unrolled: 1-line block ×4, first 2 shown]
	v_add_f64 v[67:68], v[37:38], -v[41:42]
	v_fma_f64 v[77:78], v[77:78], 2.0, -v[29:30]
	v_fma_f64 v[69:70], v[69:70], 2.0, -v[39:40]
	;; [unrolled: 1-line block ×3, first 2 shown]
	v_fma_f64 v[99:100], v[55:56], s[6:7], v[47:48]
	v_fma_f64 v[75:76], v[75:76], 2.0, -v[25:26]
	v_add_f64 v[81:82], v[39:40], -v[25:26]
	v_fma_f64 v[97:98], v[53:54], s[6:7], v[51:52]
	v_fma_f64 v[101:102], v[57:58], s[6:7], v[49:50]
	v_fma_f64 v[79:80], v[79:80], 2.0, -v[31:32]
	v_fma_f64 v[73:74], v[73:74], 2.0, -v[23:24]
	v_add_f64 v[31:32], v[29:30], v[31:32]
	v_add_f64 v[103:104], v[35:36], v[23:24]
	v_fma_f64 v[93:94], v[93:94], s[6:7], v[59:60]
	v_fma_f64 v[91:92], v[91:92], s[10:11], v[61:62]
	;; [unrolled: 1-line block ×5, first 2 shown]
	v_add_f64 v[41:42], v[77:78], -v[41:42]
	v_fma_f64 v[89:90], v[57:58], s[6:7], v[99:100]
	v_add_f64 v[63:64], v[71:72], -v[75:76]
	v_fma_f64 v[23:24], v[67:68], s[10:11], v[81:82]
	v_fma_f64 v[61:62], v[45:46], s[10:11], v[97:98]
	;; [unrolled: 1-line block ×3, first 2 shown]
	v_fma_f64 v[45:46], v[37:38], 2.0, -v[67:68]
	v_add_f64 v[57:58], v[69:70], -v[73:74]
	v_add_f64 v[37:38], v[1:2], -v[79:80]
	v_fma_f64 v[55:56], v[29:30], 2.0, -v[31:32]
	v_fma_f64 v[73:74], v[39:40], 2.0, -v[81:82]
	;; [unrolled: 1-line block ×3, first 2 shown]
	v_fma_f64 v[29:30], v[59:60], s[12:13], v[93:94]
	v_fma_f64 v[35:36], v[33:34], s[12:13], v[91:92]
	v_fma_f64 v[65:66], v[83:84], 2.0, -v[59:60]
	v_fma_f64 v[79:80], v[27:28], 2.0, -v[33:34]
	;; [unrolled: 1-line block ×4, first 2 shown]
	v_fma_f64 v[25:26], v[31:32], s[10:11], v[103:104]
	v_fma_f64 v[87:88], v[43:44], 2.0, -v[53:54]
	v_fma_f64 v[39:40], v[77:78], 2.0, -v[41:42]
	;; [unrolled: 1-line block ×4, first 2 shown]
	v_fma_f64 v[23:24], v[31:32], s[6:7], v[23:24]
	v_fma_f64 v[51:52], v[51:52], 2.0, -v[61:62]
	v_fma_f64 v[99:100], v[49:50], 2.0, -v[95:96]
	v_fma_f64 v[77:78], v[61:62], s[16:17], v[95:96]
	v_fma_f64 v[69:70], v[69:70], 2.0, -v[57:58]
	v_fma_f64 v[1:2], v[1:2], 2.0, -v[37:38]
	v_add_f64 v[31:32], v[57:58], -v[41:42]
	v_fma_f64 v[43:44], v[45:46], s[6:7], v[73:74]
	v_fma_f64 v[47:48], v[55:56], s[6:7], v[75:76]
	;; [unrolled: 1-line block ×4, first 2 shown]
	v_add_f64 v[33:34], v[63:64], v[37:38]
	v_fma_f64 v[49:50], v[65:66], s[14:15], v[83:84]
	v_fma_f64 v[59:60], v[79:80], s[14:15], v[85:86]
	;; [unrolled: 1-line block ×5, first 2 shown]
	v_add_f64 v[37:38], v[71:72], -v[39:40]
	v_fma_f64 v[105:106], v[51:52], s[4:5], v[99:100]
	v_add_f64 v[35:36], v[69:70], -v[1:2]
	v_mul_u32_u24_e32 v1, 15, v0
	v_fma_f64 v[39:40], v[55:56], s[6:7], v[43:44]
	v_fma_f64 v[41:42], v[45:46], s[10:11], v[47:48]
	v_fma_f64 v[55:56], v[57:58], 2.0, -v[31:32]
	v_and_b32_e32 v2, 0xf0f, v7
	v_fma_f64 v[57:58], v[63:64], 2.0, -v[33:34]
	v_lshlrev_b32_e32 v1, 4, v1
	v_fma_f64 v[43:44], v[79:80], s[4:5], v[49:50]
	v_fma_f64 v[45:46], v[65:66], s[12:13], v[59:60]
	;; [unrolled: 1-line block ×4, first 2 shown]
	v_fma_f64 v[59:60], v[81:82], 2.0, -v[23:24]
	v_fma_f64 v[61:62], v[103:104], 2.0, -v[25:26]
	v_fma_f64 v[51:52], v[51:52], s[14:15], v[101:102]
	v_fma_f64 v[63:64], v[93:94], 2.0, -v[27:28]
	v_fma_f64 v[65:66], v[91:92], 2.0, -v[29:30]
	v_lshl_add_u32 v7, v2, 4, 0
	v_fma_f64 v[53:54], v[87:88], s[16:17], v[105:106]
	v_add_co_u32 v87, s0, s8, v1
	v_fma_f64 v[67:68], v[69:70], 2.0, -v[35:36]
	v_fma_f64 v[69:70], v[71:72], 2.0, -v[37:38]
	;; [unrolled: 1-line block ×4, first 2 shown]
	v_add_co_ci_u32_e64 v88, null, s9, 0, s0
	v_add_co_u32 v1, s0, 0x800, v87
	v_fma_f64 v[75:76], v[83:84], 2.0, -v[43:44]
	v_fma_f64 v[77:78], v[85:86], 2.0, -v[45:46]
	;; [unrolled: 1-line block ×4, first 2 shown]
	v_add_co_ci_u32_e64 v2, s0, 0, v88, s0
	v_fma_f64 v[83:84], v[97:98], 2.0, -v[51:52]
	v_fma_f64 v[85:86], v[99:100], 2.0, -v[53:54]
	ds_write_b128 v7, v[31:34] offset:3072
	ds_write_b128 v7, v[23:26] offset:3584
	;; [unrolled: 1-line block ×10, first 2 shown]
	ds_write_b128 v7, v[67:70]
	ds_write_b128 v7, v[71:74] offset:512
	ds_write_b128 v7, v[75:78] offset:768
	;; [unrolled: 1-line block ×5, first 2 shown]
	s_waitcnt lgkmcnt(0)
	s_barrier
	buffer_gl0_inv
	global_load_dwordx4 v[23:26], v[1:2], off offset:1792
	v_add_co_u32 v35, s0, 0xf00, v87
	v_add_co_ci_u32_e64 v36, s0, 0, v88, s0
	s_clause 0x3
	global_load_dwordx4 v[27:30], v[35:36], off offset:16
	global_load_dwordx4 v[31:34], v[35:36], off offset:32
	;; [unrolled: 1-line block ×4, first 2 shown]
	v_add_co_u32 v51, s0, 0xf40, v87
	v_add_co_ci_u32_e64 v52, s0, 0, v88, s0
	s_clause 0x3
	global_load_dwordx4 v[43:46], v[51:52], off offset:16
	global_load_dwordx4 v[47:50], v[51:52], off offset:32
	;; [unrolled: 1-line block ×4, first 2 shown]
	v_add_co_u32 v83, s0, 0xf80, v87
	v_add_co_ci_u32_e64 v84, s0, 0, v88, s0
	s_clause 0x1
	global_load_dwordx4 v[59:62], v[83:84], off offset:32
	global_load_dwordx4 v[63:66], v[1:2], off offset:1984
	v_add_co_u32 v1, s0, 0xfc0, v87
	v_add_co_ci_u32_e64 v2, s0, 0, v88, s0
	s_clause 0x3
	global_load_dwordx4 v[67:70], v[1:2], off offset:16
	global_load_dwordx4 v[71:74], v[1:2], off offset:32
	;; [unrolled: 1-line block ×4, first 2 shown]
	ds_read_b128 v[79:82], v21 offset:4096
	ds_read_b128 v[87:90], v21
	ds_read_b128 v[91:94], v21 offset:8192
	ds_read_b128 v[95:98], v21 offset:12288
	v_lshl_add_u32 v7, v18, 4, 0
	v_cmp_ne_u32_e64 s0, 0, v0
	s_waitcnt vmcnt(14) lgkmcnt(3)
	v_mul_f64 v[1:2], v[81:82], v[25:26]
	v_mul_f64 v[25:26], v[79:80], v[25:26]
	s_waitcnt vmcnt(13) lgkmcnt(1)
	v_mul_f64 v[99:100], v[93:94], v[29:30]
	v_fma_f64 v[1:2], v[79:80], v[23:24], -v[1:2]
	v_fma_f64 v[79:80], v[81:82], v[23:24], v[25:26]
	v_mul_f64 v[23:24], v[91:92], v[29:30]
	s_waitcnt vmcnt(12) lgkmcnt(0)
	v_mul_f64 v[81:82], v[97:98], v[33:34]
	v_mul_f64 v[33:34], v[95:96], v[33:34]
	v_fma_f64 v[91:92], v[91:92], v[27:28], -v[99:100]
	v_fma_f64 v[93:94], v[93:94], v[27:28], v[23:24]
	ds_read_b128 v[23:26], v21 offset:16384
	ds_read_b128 v[27:30], v21 offset:20480
	v_fma_f64 v[81:82], v[95:96], v[31:32], -v[81:82]
	v_fma_f64 v[95:96], v[97:98], v[31:32], v[33:34]
	s_waitcnt vmcnt(11) lgkmcnt(1)
	v_mul_f64 v[99:100], v[25:26], v[37:38]
	v_mul_f64 v[31:32], v[23:24], v[37:38]
	s_waitcnt vmcnt(10) lgkmcnt(0)
	v_mul_f64 v[37:38], v[29:30], v[41:42]
	v_mul_f64 v[41:42], v[27:28], v[41:42]
	v_fma_f64 v[97:98], v[23:24], v[35:36], -v[99:100]
	v_fma_f64 v[35:36], v[25:26], v[35:36], v[31:32]
	ds_read_b128 v[23:26], v21 offset:24576
	ds_read_b128 v[31:34], v21 offset:28672
	v_fma_f64 v[37:38], v[27:28], v[39:40], -v[37:38]
	v_fma_f64 v[39:40], v[29:30], v[39:40], v[41:42]
	s_waitcnt vmcnt(9) lgkmcnt(1)
	v_mul_f64 v[99:100], v[25:26], v[45:46]
	;; [unrolled: 12-line block ×3, first 2 shown]
	v_mul_f64 v[31:32], v[23:24], v[53:54]
	s_waitcnt vmcnt(6) lgkmcnt(0)
	v_mul_f64 v[47:48], v[29:30], v[57:58]
	v_mul_f64 v[53:54], v[27:28], v[57:58]
	v_fma_f64 v[57:58], v[23:24], v[51:52], -v[99:100]
	v_fma_f64 v[51:52], v[25:26], v[51:52], v[31:32]
	ds_read_b128 v[23:26], v21 offset:45056
	ds_read_b128 v[31:34], v21 offset:53248
	v_fma_f64 v[47:48], v[27:28], v[55:56], -v[47:48]
	v_fma_f64 v[53:54], v[29:30], v[55:56], v[53:54]
	ds_read_b128 v[27:30], v21 offset:40960
	s_waitcnt vmcnt(5) lgkmcnt(2)
	v_mul_f64 v[55:56], v[25:26], v[61:62]
	v_mul_f64 v[61:62], v[23:24], v[61:62]
	s_waitcnt vmcnt(4) lgkmcnt(1)
	v_mul_f64 v[99:100], v[33:34], v[65:66]
	v_add_f64 v[57:58], v[87:88], -v[57:58]
	v_add_f64 v[51:52], v[89:90], -v[51:52]
	v_add_f64 v[47:48], v[1:2], -v[47:48]
	v_add_f64 v[53:54], v[79:80], -v[53:54]
	v_fma_f64 v[55:56], v[23:24], v[59:60], -v[55:56]
	v_fma_f64 v[59:60], v[25:26], v[59:60], v[61:62]
	v_mul_f64 v[61:62], v[31:32], v[65:66]
	ds_read_b128 v[23:26], v21 offset:57344
	v_fma_f64 v[65:66], v[31:32], v[63:64], -v[99:100]
	v_fma_f64 v[1:2], v[1:2], 2.0, -v[47:48]
	v_fma_f64 v[79:80], v[79:80], 2.0, -v[53:54]
	v_add_f64 v[55:56], v[81:82], -v[55:56]
	v_add_f64 v[59:60], v[95:96], -v[59:60]
	v_fma_f64 v[61:62], v[33:34], v[63:64], v[61:62]
	ds_read_b128 v[31:34], v21 offset:61440
	s_waitcnt vmcnt(3) lgkmcnt(1)
	v_mul_f64 v[63:64], v[25:26], v[69:70]
	v_mul_f64 v[69:70], v[23:24], v[69:70]
	v_add_f64 v[65:66], v[37:38], -v[65:66]
	v_add_f64 v[61:62], v[39:40], -v[61:62]
	v_fma_f64 v[63:64], v[23:24], v[67:68], -v[63:64]
	v_fma_f64 v[67:68], v[25:26], v[67:68], v[69:70]
	s_waitcnt vmcnt(2) lgkmcnt(0)
	v_mul_f64 v[69:70], v[33:34], v[73:74]
	v_mul_f64 v[73:74], v[31:32], v[73:74]
	ds_read_b128 v[23:26], v21 offset:49152
	v_fma_f64 v[37:38], v[37:38], 2.0, -v[65:66]
	s_waitcnt vmcnt(0) lgkmcnt(0)
	s_barrier
	buffer_gl0_inv
	v_fma_f64 v[39:40], v[39:40], 2.0, -v[61:62]
	v_add_f64 v[63:64], v[49:50], -v[63:64]
	v_add_f64 v[67:68], v[43:44], -v[67:68]
	v_mul_f64 v[99:100], v[25:26], v[77:78]
	v_fma_f64 v[31:32], v[31:32], v[71:72], -v[69:70]
	v_fma_f64 v[33:34], v[33:34], v[71:72], v[73:74]
	v_mul_f64 v[69:70], v[27:28], v[85:86]
	v_mul_f64 v[71:72], v[23:24], v[77:78]
	;; [unrolled: 1-line block ×3, first 2 shown]
	v_add_f64 v[77:78], v[53:54], v[65:66]
	v_fma_f64 v[65:66], v[81:82], 2.0, -v[55:56]
	v_fma_f64 v[81:82], v[95:96], 2.0, -v[59:60]
	v_add_f64 v[37:38], v[1:2], -v[37:38]
	v_add_f64 v[39:40], v[79:80], -v[39:40]
	v_fma_f64 v[43:44], v[43:44], 2.0, -v[67:68]
	v_fma_f64 v[23:24], v[23:24], v[75:76], -v[99:100]
	v_add_f64 v[31:32], v[41:42], -v[31:32]
	v_add_f64 v[33:34], v[45:46], -v[33:34]
	v_fma_f64 v[29:30], v[29:30], v[83:84], v[69:70]
	v_fma_f64 v[25:26], v[25:26], v[75:76], v[71:72]
	v_fma_f64 v[27:28], v[27:28], v[83:84], -v[73:74]
	v_fma_f64 v[69:70], v[87:88], 2.0, -v[57:58]
	v_fma_f64 v[71:72], v[89:90], 2.0, -v[51:52]
	v_add_f64 v[73:74], v[47:48], -v[61:62]
	v_fma_f64 v[1:2], v[1:2], 2.0, -v[37:38]
	v_add_f64 v[23:24], v[97:98], -v[23:24]
	v_add_f64 v[83:84], v[59:60], v[31:32]
	v_add_f64 v[75:76], v[55:56], -v[33:34]
	v_add_f64 v[29:30], v[93:94], -v[29:30]
	;; [unrolled: 1-line block ×4, first 2 shown]
	v_fma_f64 v[33:34], v[45:46], 2.0, -v[33:34]
	v_fma_f64 v[31:32], v[41:42], 2.0, -v[31:32]
	;; [unrolled: 1-line block ×4, first 2 shown]
	v_add_f64 v[23:24], v[51:52], v[23:24]
	v_fma_f64 v[45:46], v[55:56], 2.0, -v[75:76]
	v_add_f64 v[87:88], v[29:30], v[63:64]
	v_add_f64 v[89:90], v[57:58], -v[25:26]
	v_add_f64 v[67:68], v[27:28], -v[67:68]
	v_fma_f64 v[91:92], v[91:92], 2.0, -v[27:28]
	v_fma_f64 v[93:94], v[93:94], 2.0, -v[29:30]
	;; [unrolled: 1-line block ×6, first 2 shown]
	v_add_f64 v[33:34], v[81:82], -v[33:34]
	v_add_f64 v[31:32], v[65:66], -v[31:32]
	v_fma_f64 v[63:64], v[83:84], s[10:11], v[77:78]
	v_fma_f64 v[61:62], v[75:76], s[10:11], v[73:74]
	v_add_f64 v[55:56], v[69:70], -v[85:86]
	v_fma_f64 v[51:52], v[51:52], 2.0, -v[23:24]
	v_fma_f64 v[29:30], v[29:30], 2.0, -v[87:88]
	;; [unrolled: 1-line block ×4, first 2 shown]
	v_add_f64 v[41:42], v[91:92], -v[41:42]
	v_add_f64 v[43:44], v[93:94], -v[43:44]
	;; [unrolled: 1-line block ×3, first 2 shown]
	v_fma_f64 v[57:58], v[67:68], s[10:11], v[89:90]
	v_fma_f64 v[85:86], v[45:46], s[6:7], v[35:36]
	;; [unrolled: 1-line block ×4, first 2 shown]
	v_fma_f64 v[65:66], v[65:66], 2.0, -v[31:32]
	v_add_f64 v[31:32], v[39:40], v[31:32]
	v_fma_f64 v[63:64], v[75:76], s[10:11], v[63:64]
	v_fma_f64 v[61:62], v[83:84], s[6:7], v[61:62]
	v_fma_f64 v[97:98], v[29:30], s[6:7], v[51:52]
	v_fma_f64 v[99:100], v[27:28], s[6:7], v[53:54]
	v_fma_f64 v[91:92], v[91:92], 2.0, -v[41:42]
	v_fma_f64 v[93:94], v[93:94], 2.0, -v[43:44]
	v_add_f64 v[101:102], v[55:56], -v[43:44]
	v_add_f64 v[43:44], v[37:38], -v[33:34]
	v_add_f64 v[103:104], v[25:26], v[41:42]
	v_fma_f64 v[41:42], v[69:70], 2.0, -v[55:56]
	v_fma_f64 v[69:70], v[71:72], 2.0, -v[25:26]
	v_fma_f64 v[71:72], v[79:80], 2.0, -v[39:40]
	v_fma_f64 v[33:34], v[81:82], 2.0, -v[33:34]
	v_fma_f64 v[105:106], v[87:88], s[6:7], v[57:58]
	v_fma_f64 v[57:58], v[49:50], s[6:7], v[85:86]
	;; [unrolled: 1-line block ×6, first 2 shown]
	v_fma_f64 v[59:60], v[77:78], 2.0, -v[63:64]
	v_fma_f64 v[79:80], v[55:56], 2.0, -v[101:102]
	v_fma_f64 v[27:28], v[37:38], 2.0, -v[43:44]
	v_fma_f64 v[37:38], v[39:40], 2.0, -v[31:32]
	v_fma_f64 v[81:82], v[25:26], 2.0, -v[103:104]
	v_add_f64 v[67:68], v[41:42], -v[91:92]
	v_add_f64 v[83:84], v[69:70], -v[93:94]
	;; [unrolled: 1-line block ×4, first 2 shown]
	v_fma_f64 v[88:89], v[89:90], 2.0, -v[105:106]
	v_fma_f64 v[49:50], v[35:36], 2.0, -v[57:58]
	;; [unrolled: 1-line block ×4, first 2 shown]
	v_fma_f64 v[29:30], v[43:44], s[10:11], v[101:102]
	v_fma_f64 v[33:34], v[31:32], s[10:11], v[103:104]
	;; [unrolled: 1-line block ×3, first 2 shown]
	v_fma_f64 v[92:93], v[51:52], 2.0, -v[95:96]
	v_fma_f64 v[23:24], v[23:24], 2.0, -v[97:98]
	;; [unrolled: 1-line block ×3, first 2 shown]
	v_fma_f64 v[109:110], v[75:76], s[16:17], v[95:96]
	v_fma_f64 v[111:112], v[57:58], s[16:17], v[86:87]
	;; [unrolled: 1-line block ×4, first 2 shown]
	v_fma_f64 v[73:74], v[41:42], 2.0, -v[67:68]
	v_fma_f64 v[77:78], v[69:70], 2.0, -v[83:84]
	;; [unrolled: 1-line block ×4, first 2 shown]
	v_fma_f64 v[69:70], v[55:56], s[14:15], v[88:89]
	v_fma_f64 v[30:31], v[31:32], s[6:7], v[29:30]
	;; [unrolled: 1-line block ×3, first 2 shown]
	v_lshl_add_u32 v29, v6, 4, 0
	v_fma_f64 v[99:100], v[46:47], s[4:5], v[92:93]
	v_fma_f64 v[107:108], v[59:60], s[14:15], v[23:24]
	;; [unrolled: 1-line block ×4, first 2 shown]
	v_add_f64 v[38:39], v[67:68], -v[39:40]
	v_fma_f64 v[36:37], v[27:28], s[10:11], v[51:52]
	v_fma_f64 v[27:28], v[63:64], s[12:13], v[97:98]
	v_add_f64 v[40:41], v[83:84], v[25:26]
	v_add_f64 v[42:43], v[73:74], -v[1:2]
	v_add_f64 v[44:45], v[77:78], -v[53:54]
	v_lshl_add_u32 v25, v12, 4, 0
	v_lshl_add_u32 v1, v22, 4, 0
	;; [unrolled: 1-line block ×4, first 2 shown]
                                        ; implicit-def: $vgpr18_vgpr19
	v_fma_f64 v[48:49], v[49:50], s[16:17], v[99:100]
	v_fma_f64 v[50:51], v[59:60], s[4:5], v[69:70]
	;; [unrolled: 1-line block ×7, first 2 shown]
	s_add_u32 s4, s8, 0xff00
	s_addc_u32 s5, s9, 0
	v_fma_f64 v[60:61], v[61:62], s[16:17], v[27:28]
	v_fma_f64 v[64:65], v[83:84], 2.0, -v[40:41]
	v_fma_f64 v[70:71], v[73:74], 2.0, -v[42:43]
	;; [unrolled: 1-line block ×8, first 2 shown]
	v_lshl_add_u32 v28, v14, 4, 0
	v_lshl_add_u32 v27, v13, 4, 0
	v_fma_f64 v[80:81], v[92:93], 2.0, -v[48:49]
	v_fma_f64 v[82:83], v[88:89], 2.0, -v[50:51]
	;; [unrolled: 1-line block ×7, first 2 shown]
	v_lshl_add_u32 v24, v10, 4, 0
	v_lshl_add_u32 v23, v5, 4, 0
	v_fma_f64 v[92:93], v[97:98], 2.0, -v[60:61]
	ds_write_b128 v21, v[70:73]
	ds_write_b128 v29, v[78:81]
	;; [unrolled: 1-line block ×16, first 2 shown]
	s_waitcnt lgkmcnt(0)
	s_barrier
	buffer_gl0_inv
	ds_read_b128 v[1:4], v21
	v_sub_nc_u32_e32 v7, 0x1000, v0
                                        ; implicit-def: $vgpr16_vgpr17
	v_lshl_add_u32 v22, v7, 4, 0
	s_and_saveexec_b32 s1, s0
	s_xor_b32 s0, exec_lo, s1
	s_cbranch_execz .LBB0_15
; %bb.14:
	global_load_dwordx4 v[15:18], v20, s[4:5]
	ds_read_b128 v[30:33], v22
	s_waitcnt lgkmcnt(0)
	v_add_f64 v[34:35], v[1:2], -v[30:31]
	v_add_f64 v[36:37], v[3:4], v[32:33]
	v_add_f64 v[3:4], v[3:4], -v[32:33]
	v_add_f64 v[1:2], v[1:2], v[30:31]
	v_mul_f64 v[32:33], v[34:35], 0.5
	v_mul_f64 v[34:35], v[36:37], 0.5
	;; [unrolled: 1-line block ×3, first 2 shown]
	s_waitcnt vmcnt(0)
	v_mul_f64 v[30:31], v[32:33], v[17:18]
	v_fma_f64 v[36:37], v[34:35], v[17:18], v[3:4]
	v_fma_f64 v[3:4], v[34:35], v[17:18], -v[3:4]
	v_fma_f64 v[17:18], v[1:2], 0.5, v[30:31]
	v_fma_f64 v[1:2], v[1:2], 0.5, -v[30:31]
	v_fma_f64 v[30:31], -v[15:16], v[32:33], v[36:37]
	v_fma_f64 v[3:4], -v[15:16], v[32:33], v[3:4]
	ds_write_b64 v21, v[30:31] offset:8
	ds_write_b64 v22, v[3:4] offset:8
	v_fma_f64 v[18:19], v[34:35], v[15:16], v[17:18]
	v_fma_f64 v[16:17], -v[34:35], v[15:16], v[1:2]
                                        ; implicit-def: $vgpr1_vgpr2
.LBB0_15:
	s_andn2_saveexec_b32 s0, s0
	s_cbranch_execz .LBB0_17
; %bb.16:
	s_mov_b32 s6, 0
	v_mov_b32_e32 v7, 0
	s_mov_b32 s7, s6
	s_waitcnt lgkmcnt(0)
	v_add_f64 v[18:19], v[1:2], v[3:4]
	v_mov_b32_e32 v16, s7
	v_mov_b32_e32 v15, s6
	ds_write_b64 v21, v[15:16] offset:8
	ds_write_b64 v22, v[15:16] offset:8
	ds_read_b64 v[30:31], v7 offset:32776
	v_add_f64 v[16:17], v[1:2], -v[3:4]
	s_waitcnt lgkmcnt(0)
	v_xor_b32_e32 v31, 0x80000000, v31
	ds_write_b64 v7, v[30:31] offset:32776
.LBB0_17:
	s_or_b32 exec_lo, exec_lo, s0
	v_mov_b32_e32 v7, 0
	ds_write_b64 v21, v[18:19]
	v_sub_nc_u32_e32 v44, 0, v20
	ds_write_b64 v22, v[16:17]
	s_waitcnt lgkmcnt(2)
	v_lshlrev_b64 v[1:2], 4, v[6:7]
	v_mov_b32_e32 v15, v7
	v_mov_b32_e32 v6, v7
	v_lshlrev_b64 v[14:15], 4, v[14:15]
	v_add_co_u32 v1, s0, s4, v1
	v_add_co_ci_u32_e64 v2, s0, s5, v2, s0
	v_lshlrev_b64 v[5:6], 4, v[5:6]
	v_add_co_u32 v14, s0, s4, v14
	global_load_dwordx4 v[1:4], v[1:2], off
	v_add_co_ci_u32_e64 v15, s0, s5, v15, s0
	global_load_dwordx4 v[30:33], v[14:15], off
	v_mov_b32_e32 v14, v7
	v_lshlrev_b64 v[18:19], 4, v[13:14]
	ds_read_b128 v[13:16], v29
	ds_read_b128 v[34:37], v44 offset:61440
	v_add_co_u32 v17, s0, s4, v18
	v_add_co_ci_u32_e64 v18, s0, s5, v19, s0
	global_load_dwordx4 v[38:41], v[17:18], off
	s_waitcnt lgkmcnt(0)
	v_add_f64 v[17:18], v[13:14], -v[34:35]
	v_add_f64 v[42:43], v[15:16], v[36:37]
	v_add_f64 v[15:16], v[15:16], -v[36:37]
	v_add_f64 v[13:14], v[13:14], v[34:35]
	v_mul_f64 v[17:18], v[17:18], 0.5
	v_mul_f64 v[36:37], v[42:43], 0.5
	;; [unrolled: 1-line block ×3, first 2 shown]
	s_waitcnt vmcnt(2)
	v_mul_f64 v[34:35], v[17:18], v[3:4]
	v_fma_f64 v[42:43], v[36:37], v[3:4], v[15:16]
	v_fma_f64 v[3:4], v[36:37], v[3:4], -v[15:16]
	v_fma_f64 v[15:16], v[13:14], 0.5, v[34:35]
	v_fma_f64 v[13:14], v[13:14], 0.5, -v[34:35]
	v_fma_f64 v[34:35], -v[1:2], v[17:18], v[42:43]
	v_fma_f64 v[3:4], -v[1:2], v[17:18], v[3:4]
	v_fma_f64 v[15:16], v[36:37], v[1:2], v[15:16]
	v_fma_f64 v[1:2], -v[36:37], v[1:2], v[13:14]
	v_mov_b32_e32 v13, v7
	ds_write2_b64 v29, v[15:16], v[34:35] offset1:1
	ds_write_b128 v44, v[1:4] offset:61440
	v_lshlrev_b64 v[17:18], 4, v[12:13]
	ds_read_b128 v[1:4], v28
	ds_read_b128 v[12:15], v44 offset:57344
	v_add_co_u32 v16, s0, s4, v17
	v_add_co_ci_u32_e64 v17, s0, s5, v18, s0
	global_load_dwordx4 v[16:19], v[16:17], off
	s_waitcnt lgkmcnt(0)
	v_add_f64 v[34:35], v[1:2], -v[12:13]
	v_add_f64 v[36:37], v[3:4], v[14:15]
	v_add_f64 v[3:4], v[3:4], -v[14:15]
	v_add_f64 v[1:2], v[1:2], v[12:13]
	v_mul_f64 v[14:15], v[34:35], 0.5
	v_mul_f64 v[34:35], v[36:37], 0.5
	;; [unrolled: 1-line block ×3, first 2 shown]
	s_waitcnt vmcnt(2)
	v_mul_f64 v[12:13], v[14:15], v[32:33]
	v_fma_f64 v[36:37], v[34:35], v[32:33], v[3:4]
	v_fma_f64 v[3:4], v[34:35], v[32:33], -v[3:4]
	v_fma_f64 v[32:33], v[1:2], 0.5, v[12:13]
	v_fma_f64 v[1:2], v[1:2], 0.5, -v[12:13]
	v_fma_f64 v[36:37], -v[30:31], v[14:15], v[36:37]
	v_fma_f64 v[3:4], -v[30:31], v[14:15], v[3:4]
	v_mov_b32_e32 v12, v7
	v_fma_f64 v[13:14], v[34:35], v[30:31], v[32:33]
	v_fma_f64 v[1:2], -v[34:35], v[30:31], v[1:2]
	v_lshlrev_b64 v[29:30], 4, v[11:12]
	ds_write2_b64 v28, v[13:14], v[36:37] offset1:1
	ds_write_b128 v44, v[1:4] offset:57344
	v_add_co_u32 v28, s0, s4, v29
	ds_read_b128 v[1:4], v27
	ds_read_b128 v[11:14], v44 offset:53248
	v_add_co_ci_u32_e64 v29, s0, s5, v30, s0
	global_load_dwordx4 v[28:31], v[28:29], off
	s_waitcnt lgkmcnt(0)
	v_add_f64 v[32:33], v[1:2], -v[11:12]
	v_add_f64 v[34:35], v[3:4], v[13:14]
	v_add_f64 v[3:4], v[3:4], -v[13:14]
	v_add_f64 v[1:2], v[1:2], v[11:12]
	v_mul_f64 v[13:14], v[32:33], 0.5
	v_mul_f64 v[32:33], v[34:35], 0.5
	;; [unrolled: 1-line block ×3, first 2 shown]
	s_waitcnt vmcnt(2)
	v_mul_f64 v[11:12], v[13:14], v[40:41]
	v_fma_f64 v[34:35], v[32:33], v[40:41], v[3:4]
	v_fma_f64 v[3:4], v[32:33], v[40:41], -v[3:4]
	v_fma_f64 v[36:37], v[1:2], 0.5, v[11:12]
	v_fma_f64 v[1:2], v[1:2], 0.5, -v[11:12]
	v_fma_f64 v[34:35], -v[38:39], v[13:14], v[34:35]
	v_fma_f64 v[3:4], -v[38:39], v[13:14], v[3:4]
	v_mov_b32_e32 v11, v7
	v_lshlrev_b64 v[14:15], 4, v[10:11]
	v_add_co_u32 v14, s0, s4, v14
	v_add_co_ci_u32_e64 v15, s0, s5, v15, s0
	v_add_co_u32 v5, s0, s4, v5
	v_add_co_ci_u32_e64 v6, s0, s5, v6, s0
	v_fma_f64 v[12:13], v[32:33], v[38:39], v[36:37]
	v_fma_f64 v[1:2], -v[32:33], v[38:39], v[1:2]
	ds_write2_b64 v27, v[12:13], v[34:35] offset1:1
	ds_write_b128 v44, v[1:4] offset:53248
	ds_read_b128 v[1:4], v25
	ds_read_b128 v[10:13], v44 offset:49152
	global_load_dwordx4 v[32:35], v[14:15], off
	s_waitcnt lgkmcnt(0)
	v_add_f64 v[14:15], v[1:2], -v[10:11]
	v_add_f64 v[36:37], v[3:4], v[12:13]
	v_add_f64 v[3:4], v[3:4], -v[12:13]
	v_add_f64 v[1:2], v[1:2], v[10:11]
	v_mul_f64 v[12:13], v[14:15], 0.5
	v_mul_f64 v[14:15], v[36:37], 0.5
	;; [unrolled: 1-line block ×3, first 2 shown]
	s_waitcnt vmcnt(2)
	v_mul_f64 v[10:11], v[12:13], v[18:19]
	v_fma_f64 v[36:37], v[14:15], v[18:19], v[3:4]
	v_fma_f64 v[3:4], v[14:15], v[18:19], -v[3:4]
	v_fma_f64 v[18:19], v[1:2], 0.5, v[10:11]
	v_fma_f64 v[1:2], v[1:2], 0.5, -v[10:11]
	v_fma_f64 v[10:11], -v[16:17], v[12:13], v[36:37]
	v_fma_f64 v[3:4], -v[16:17], v[12:13], v[3:4]
	v_fma_f64 v[12:13], v[14:15], v[16:17], v[18:19]
	v_fma_f64 v[1:2], -v[14:15], v[16:17], v[1:2]
	ds_write2_b64 v25, v[12:13], v[10:11] offset1:1
	ds_write_b128 v44, v[1:4] offset:49152
	ds_read_b128 v[1:4], v26
	ds_read_b128 v[10:13], v44 offset:45056
	global_load_dwordx4 v[14:17], v[5:6], off
	s_waitcnt lgkmcnt(0)
	v_add_f64 v[5:6], v[1:2], -v[10:11]
	v_add_f64 v[18:19], v[3:4], v[12:13]
	v_add_f64 v[3:4], v[3:4], -v[12:13]
	v_add_f64 v[1:2], v[1:2], v[10:11]
	v_mul_f64 v[5:6], v[5:6], 0.5
	v_mul_f64 v[12:13], v[18:19], 0.5
	;; [unrolled: 1-line block ×3, first 2 shown]
	s_waitcnt vmcnt(2)
	v_mul_f64 v[10:11], v[5:6], v[30:31]
	v_fma_f64 v[18:19], v[12:13], v[30:31], v[3:4]
	v_fma_f64 v[3:4], v[12:13], v[30:31], -v[3:4]
	v_fma_f64 v[30:31], v[1:2], 0.5, v[10:11]
	v_fma_f64 v[1:2], v[1:2], 0.5, -v[10:11]
	v_fma_f64 v[10:11], -v[28:29], v[5:6], v[18:19]
	v_fma_f64 v[3:4], -v[28:29], v[5:6], v[3:4]
	v_fma_f64 v[5:6], v[12:13], v[28:29], v[30:31]
	v_fma_f64 v[1:2], -v[12:13], v[28:29], v[1:2]
	ds_write2_b64 v26, v[5:6], v[10:11] offset1:1
	ds_write_b128 v44, v[1:4] offset:45056
	ds_read_b128 v[1:4], v24
	ds_read_b128 v[10:13], v44 offset:40960
	s_waitcnt lgkmcnt(0)
	v_add_f64 v[5:6], v[1:2], -v[10:11]
	v_add_f64 v[18:19], v[3:4], v[12:13]
	v_add_f64 v[3:4], v[3:4], -v[12:13]
	v_add_f64 v[1:2], v[1:2], v[10:11]
	v_mul_f64 v[5:6], v[5:6], 0.5
	v_mul_f64 v[12:13], v[18:19], 0.5
	;; [unrolled: 1-line block ×3, first 2 shown]
	s_waitcnt vmcnt(1)
	v_mul_f64 v[10:11], v[5:6], v[34:35]
	v_fma_f64 v[18:19], v[12:13], v[34:35], v[3:4]
	v_fma_f64 v[3:4], v[12:13], v[34:35], -v[3:4]
	v_fma_f64 v[25:26], v[1:2], 0.5, v[10:11]
	v_fma_f64 v[1:2], v[1:2], 0.5, -v[10:11]
	v_fma_f64 v[10:11], -v[32:33], v[5:6], v[18:19]
	v_fma_f64 v[3:4], -v[32:33], v[5:6], v[3:4]
	v_fma_f64 v[5:6], v[12:13], v[32:33], v[25:26]
	v_fma_f64 v[1:2], -v[12:13], v[32:33], v[1:2]
	ds_write2_b64 v24, v[5:6], v[10:11] offset1:1
	ds_write_b128 v44, v[1:4] offset:40960
	ds_read_b128 v[1:4], v23
	ds_read_b128 v[10:13], v44 offset:36864
	s_waitcnt lgkmcnt(0)
	v_add_f64 v[5:6], v[1:2], -v[10:11]
	v_add_f64 v[18:19], v[3:4], v[12:13]
	v_add_f64 v[3:4], v[3:4], -v[12:13]
	v_add_f64 v[1:2], v[1:2], v[10:11]
	v_mul_f64 v[5:6], v[5:6], 0.5
	v_mul_f64 v[12:13], v[18:19], 0.5
	;; [unrolled: 1-line block ×3, first 2 shown]
	s_waitcnt vmcnt(0)
	v_mul_f64 v[10:11], v[5:6], v[16:17]
	v_fma_f64 v[18:19], v[12:13], v[16:17], v[3:4]
	v_fma_f64 v[3:4], v[12:13], v[16:17], -v[3:4]
	v_fma_f64 v[16:17], v[1:2], 0.5, v[10:11]
	v_fma_f64 v[1:2], v[1:2], 0.5, -v[10:11]
	v_fma_f64 v[10:11], -v[14:15], v[5:6], v[18:19]
	v_fma_f64 v[3:4], -v[14:15], v[5:6], v[3:4]
	v_fma_f64 v[5:6], v[12:13], v[14:15], v[16:17]
	v_fma_f64 v[1:2], -v[12:13], v[14:15], v[1:2]
	ds_write2_b64 v23, v[5:6], v[10:11] offset1:1
	ds_write_b128 v44, v[1:4] offset:36864
	s_waitcnt lgkmcnt(0)
	s_barrier
	buffer_gl0_inv
	s_and_saveexec_b32 s0, vcc_lo
	s_cbranch_execz .LBB0_20
; %bb.18:
	ds_read_b128 v[3:6], v21
	v_or_b32_e32 v19, 0x3000, v20
	v_add_co_u32 v1, vcc_lo, s2, v8
	v_add_co_ci_u32_e32 v2, vcc_lo, s3, v9, vcc_lo
	v_add_nc_u32_e32 v15, 0, v19
	ds_read_b128 v[7:10], v21 offset:4096
	ds_read_b128 v[11:14], v21 offset:8192
	v_or_b32_e32 v24, 0x1000, v20
	v_add_co_u32 v22, vcc_lo, v1, v20
	ds_read_b128 v[15:18], v15
	v_or_b32_e32 v26, 0x2000, v20
	v_add_co_ci_u32_e32 v23, vcc_lo, 0, v2, vcc_lo
	v_add_co_u32 v24, vcc_lo, v1, v24
	v_add_co_ci_u32_e32 v25, vcc_lo, 0, v2, vcc_lo
	s_waitcnt lgkmcnt(3)
	global_store_dwordx4 v[22:23], v[3:6], off
	v_add_co_u32 v22, vcc_lo, v1, v26
	v_or_b32_e32 v32, 0x7000, v20
	v_add_co_ci_u32_e32 v23, vcc_lo, 0, v2, vcc_lo
	v_add_co_u32 v26, vcc_lo, v1, v19
	v_add_co_ci_u32_e32 v27, vcc_lo, 0, v2, vcc_lo
	v_add_nc_u32_e32 v28, 0, v32
	s_waitcnt lgkmcnt(2)
	global_store_dwordx4 v[24:25], v[7:10], off
	ds_read_b128 v[3:6], v21 offset:16384
	s_waitcnt lgkmcnt(2)
	global_store_dwordx4 v[22:23], v[11:14], off
	s_waitcnt lgkmcnt(1)
	global_store_dwordx4 v[26:27], v[15:18], off
	ds_read_b128 v[7:10], v28
	ds_read_b128 v[11:14], v21 offset:20480
	ds_read_b128 v[15:18], v21 offset:24576
	v_or_b32_e32 v19, 0x4000, v20
	v_or_b32_e32 v22, 0x5000, v20
	v_add_co_u32 v26, vcc_lo, v1, v19
	v_add_co_ci_u32_e32 v27, vcc_lo, 0, v2, vcc_lo
	v_add_co_u32 v28, vcc_lo, v1, v22
	ds_read_b128 v[22:25], v21 offset:32768
	v_or_b32_e32 v19, 0x6000, v20
	v_add_co_ci_u32_e32 v29, vcc_lo, 0, v2, vcc_lo
	s_waitcnt lgkmcnt(4)
	global_store_dwordx4 v[26:27], v[3:6], off
	s_waitcnt lgkmcnt(2)
	global_store_dwordx4 v[28:29], v[11:14], off
	v_add_co_u32 v30, vcc_lo, v1, v19
	v_or_b32_e32 v3, 0x8000, v20
	v_add_co_ci_u32_e32 v31, vcc_lo, 0, v2, vcc_lo
	v_add_co_u32 v32, vcc_lo, v1, v32
	v_or_b32_e32 v19, 0xb000, v20
	v_add_co_ci_u32_e32 v33, vcc_lo, 0, v2, vcc_lo
	v_add_co_u32 v11, vcc_lo, v1, v3
	v_add_co_ci_u32_e32 v12, vcc_lo, 0, v2, vcc_lo
	v_add_nc_u32_e32 v13, 0, v19
	s_waitcnt lgkmcnt(1)
	global_store_dwordx4 v[30:31], v[15:18], off
	global_store_dwordx4 v[32:33], v[7:10], off
	ds_read_b128 v[3:6], v21 offset:36864
	ds_read_b128 v[7:10], v21 offset:40960
	s_waitcnt lgkmcnt(2)
	global_store_dwordx4 v[11:12], v[22:25], off
	ds_read_b128 v[11:14], v13
	v_or_b32_e32 v15, 0x9000, v20
	v_or_b32_e32 v17, 0xa000, v20
	;; [unrolled: 1-line block ×3, first 2 shown]
	v_add_co_u32 v15, vcc_lo, v1, v15
	v_add_co_ci_u32_e32 v16, vcc_lo, 0, v2, vcc_lo
	v_add_co_u32 v17, vcc_lo, v1, v17
	v_add_co_ci_u32_e32 v18, vcc_lo, 0, v2, vcc_lo
	;; [unrolled: 2-line block ×3, first 2 shown]
	v_add_nc_u32_e32 v24, 0, v25
	v_or_b32_e32 v19, 0xc000, v20
	s_waitcnt lgkmcnt(2)
	global_store_dwordx4 v[15:16], v[3:6], off
	ds_read_b128 v[3:6], v21 offset:49152
	s_waitcnt lgkmcnt(2)
	global_store_dwordx4 v[17:18], v[7:10], off
	s_waitcnt lgkmcnt(1)
	global_store_dwordx4 v[22:23], v[11:14], off
	ds_read_b128 v[7:10], v24
	ds_read_b128 v[11:14], v21 offset:53248
	ds_read_b128 v[15:18], v21 offset:57344
	v_or_b32_e32 v23, 0xd000, v20
	v_add_co_u32 v21, vcc_lo, v1, v19
	v_or_b32_e32 v24, 0xe000, v20
	v_add_co_ci_u32_e32 v22, vcc_lo, 0, v2, vcc_lo
	v_add_co_u32 v19, vcc_lo, v1, v23
	v_add_co_ci_u32_e32 v20, vcc_lo, 0, v2, vcc_lo
	v_add_co_u32 v23, vcc_lo, v1, v24
	;; [unrolled: 2-line block ×3, first 2 shown]
	v_add_co_ci_u32_e32 v26, vcc_lo, 0, v2, vcc_lo
	v_cmp_eq_u32_e32 vcc_lo, 0xff, v0
	s_waitcnt lgkmcnt(3)
	global_store_dwordx4 v[21:22], v[3:6], off
	s_waitcnt lgkmcnt(1)
	global_store_dwordx4 v[19:20], v[11:14], off
	s_waitcnt lgkmcnt(0)
	global_store_dwordx4 v[23:24], v[15:18], off
	global_store_dwordx4 v[25:26], v[7:10], off
	s_and_b32 exec_lo, exec_lo, vcc_lo
	s_cbranch_execz .LBB0_20
; %bb.19:
	s_add_i32 s0, 0, 0x10000
	v_mov_b32_e32 v0, s0
	ds_read_b128 v[3:6], v0
	v_add_co_u32 v0, vcc_lo, 0x10000, v1
	v_add_co_ci_u32_e32 v1, vcc_lo, 0, v2, vcc_lo
	s_waitcnt lgkmcnt(0)
	global_store_dwordx4 v[0:1], v[3:6], off
.LBB0_20:
	s_endpgm
	.section	.rodata,"a",@progbits
	.p2align	6, 0x0
	.amdhsa_kernel fft_rtc_fwd_len4096_factors_16_16_16_wgs_256_tpt_256_halfLds_dp_ip_CI_unitstride_sbrr_R2C_dirReg
		.amdhsa_group_segment_fixed_size 0
		.amdhsa_private_segment_fixed_size 0
		.amdhsa_kernarg_size 88
		.amdhsa_user_sgpr_count 6
		.amdhsa_user_sgpr_private_segment_buffer 1
		.amdhsa_user_sgpr_dispatch_ptr 0
		.amdhsa_user_sgpr_queue_ptr 0
		.amdhsa_user_sgpr_kernarg_segment_ptr 1
		.amdhsa_user_sgpr_dispatch_id 0
		.amdhsa_user_sgpr_flat_scratch_init 0
		.amdhsa_user_sgpr_private_segment_size 0
		.amdhsa_wavefront_size32 1
		.amdhsa_uses_dynamic_stack 0
		.amdhsa_system_sgpr_private_segment_wavefront_offset 0
		.amdhsa_system_sgpr_workgroup_id_x 1
		.amdhsa_system_sgpr_workgroup_id_y 0
		.amdhsa_system_sgpr_workgroup_id_z 0
		.amdhsa_system_sgpr_workgroup_info 0
		.amdhsa_system_vgpr_workitem_id 0
		.amdhsa_next_free_vgpr 113
		.amdhsa_next_free_sgpr 21
		.amdhsa_reserve_vcc 1
		.amdhsa_reserve_flat_scratch 0
		.amdhsa_float_round_mode_32 0
		.amdhsa_float_round_mode_16_64 0
		.amdhsa_float_denorm_mode_32 3
		.amdhsa_float_denorm_mode_16_64 3
		.amdhsa_dx10_clamp 1
		.amdhsa_ieee_mode 1
		.amdhsa_fp16_overflow 0
		.amdhsa_workgroup_processor_mode 1
		.amdhsa_memory_ordered 1
		.amdhsa_forward_progress 0
		.amdhsa_shared_vgpr_count 0
		.amdhsa_exception_fp_ieee_invalid_op 0
		.amdhsa_exception_fp_denorm_src 0
		.amdhsa_exception_fp_ieee_div_zero 0
		.amdhsa_exception_fp_ieee_overflow 0
		.amdhsa_exception_fp_ieee_underflow 0
		.amdhsa_exception_fp_ieee_inexact 0
		.amdhsa_exception_int_div_zero 0
	.end_amdhsa_kernel
	.text
.Lfunc_end0:
	.size	fft_rtc_fwd_len4096_factors_16_16_16_wgs_256_tpt_256_halfLds_dp_ip_CI_unitstride_sbrr_R2C_dirReg, .Lfunc_end0-fft_rtc_fwd_len4096_factors_16_16_16_wgs_256_tpt_256_halfLds_dp_ip_CI_unitstride_sbrr_R2C_dirReg
                                        ; -- End function
	.section	.AMDGPU.csdata,"",@progbits
; Kernel info:
; codeLenInByte = 10736
; NumSgprs: 23
; NumVgprs: 113
; ScratchSize: 0
; MemoryBound: 0
; FloatMode: 240
; IeeeMode: 1
; LDSByteSize: 0 bytes/workgroup (compile time only)
; SGPRBlocks: 2
; VGPRBlocks: 14
; NumSGPRsForWavesPerEU: 23
; NumVGPRsForWavesPerEU: 113
; Occupancy: 8
; WaveLimiterHint : 1
; COMPUTE_PGM_RSRC2:SCRATCH_EN: 0
; COMPUTE_PGM_RSRC2:USER_SGPR: 6
; COMPUTE_PGM_RSRC2:TRAP_HANDLER: 0
; COMPUTE_PGM_RSRC2:TGID_X_EN: 1
; COMPUTE_PGM_RSRC2:TGID_Y_EN: 0
; COMPUTE_PGM_RSRC2:TGID_Z_EN: 0
; COMPUTE_PGM_RSRC2:TIDIG_COMP_CNT: 0
	.text
	.p2alignl 6, 3214868480
	.fill 48, 4, 3214868480
	.type	__hip_cuid_4e771ab68b353a4d,@object ; @__hip_cuid_4e771ab68b353a4d
	.section	.bss,"aw",@nobits
	.globl	__hip_cuid_4e771ab68b353a4d
__hip_cuid_4e771ab68b353a4d:
	.byte	0                               ; 0x0
	.size	__hip_cuid_4e771ab68b353a4d, 1

	.ident	"AMD clang version 19.0.0git (https://github.com/RadeonOpenCompute/llvm-project roc-6.4.0 25133 c7fe45cf4b819c5991fe208aaa96edf142730f1d)"
	.section	".note.GNU-stack","",@progbits
	.addrsig
	.addrsig_sym __hip_cuid_4e771ab68b353a4d
	.amdgpu_metadata
---
amdhsa.kernels:
  - .args:
      - .actual_access:  read_only
        .address_space:  global
        .offset:         0
        .size:           8
        .value_kind:     global_buffer
      - .offset:         8
        .size:           8
        .value_kind:     by_value
      - .actual_access:  read_only
        .address_space:  global
        .offset:         16
        .size:           8
        .value_kind:     global_buffer
      - .actual_access:  read_only
        .address_space:  global
        .offset:         24
        .size:           8
        .value_kind:     global_buffer
      - .offset:         32
        .size:           8
        .value_kind:     by_value
      - .actual_access:  read_only
        .address_space:  global
        .offset:         40
        .size:           8
        .value_kind:     global_buffer
      - .actual_access:  read_only
        .address_space:  global
        .offset:         48
        .size:           8
        .value_kind:     global_buffer
      - .offset:         56
        .size:           4
        .value_kind:     by_value
      - .actual_access:  read_only
        .address_space:  global
        .offset:         64
        .size:           8
        .value_kind:     global_buffer
      - .actual_access:  read_only
        .address_space:  global
        .offset:         72
        .size:           8
        .value_kind:     global_buffer
      - .address_space:  global
        .offset:         80
        .size:           8
        .value_kind:     global_buffer
    .group_segment_fixed_size: 0
    .kernarg_segment_align: 8
    .kernarg_segment_size: 88
    .language:       OpenCL C
    .language_version:
      - 2
      - 0
    .max_flat_workgroup_size: 256
    .name:           fft_rtc_fwd_len4096_factors_16_16_16_wgs_256_tpt_256_halfLds_dp_ip_CI_unitstride_sbrr_R2C_dirReg
    .private_segment_fixed_size: 0
    .sgpr_count:     23
    .sgpr_spill_count: 0
    .symbol:         fft_rtc_fwd_len4096_factors_16_16_16_wgs_256_tpt_256_halfLds_dp_ip_CI_unitstride_sbrr_R2C_dirReg.kd
    .uniform_work_group_size: 1
    .uses_dynamic_stack: false
    .vgpr_count:     113
    .vgpr_spill_count: 0
    .wavefront_size: 32
    .workgroup_processor_mode: 1
amdhsa.target:   amdgcn-amd-amdhsa--gfx1030
amdhsa.version:
  - 1
  - 2
...

	.end_amdgpu_metadata
